;; amdgpu-corpus repo=ROCm/rocFFT kind=compiled arch=gfx1030 opt=O3
	.text
	.amdgcn_target "amdgcn-amd-amdhsa--gfx1030"
	.amdhsa_code_object_version 6
	.protected	fft_rtc_back_len1980_factors_11_2_3_3_5_2_wgs_198_tpt_198_halfLds_sp_ip_CI_unitstride_sbrr_R2C_dirReg ; -- Begin function fft_rtc_back_len1980_factors_11_2_3_3_5_2_wgs_198_tpt_198_halfLds_sp_ip_CI_unitstride_sbrr_R2C_dirReg
	.globl	fft_rtc_back_len1980_factors_11_2_3_3_5_2_wgs_198_tpt_198_halfLds_sp_ip_CI_unitstride_sbrr_R2C_dirReg
	.p2align	8
	.type	fft_rtc_back_len1980_factors_11_2_3_3_5_2_wgs_198_tpt_198_halfLds_sp_ip_CI_unitstride_sbrr_R2C_dirReg,@function
fft_rtc_back_len1980_factors_11_2_3_3_5_2_wgs_198_tpt_198_halfLds_sp_ip_CI_unitstride_sbrr_R2C_dirReg: ; @fft_rtc_back_len1980_factors_11_2_3_3_5_2_wgs_198_tpt_198_halfLds_sp_ip_CI_unitstride_sbrr_R2C_dirReg
; %bb.0:
	s_clause 0x2
	s_load_dwordx4 s[8:11], s[4:5], 0x0
	s_load_dwordx2 s[2:3], s[4:5], 0x50
	s_load_dwordx2 s[12:13], s[4:5], 0x18
	v_mul_u32_u24_e32 v1, 0x14b, v0
	v_mov_b32_e32 v3, 0
	v_add_nc_u32_sdwa v5, s6, v1 dst_sel:DWORD dst_unused:UNUSED_PAD src0_sel:DWORD src1_sel:WORD_1
	v_mov_b32_e32 v1, 0
	v_mov_b32_e32 v6, v3
	v_mov_b32_e32 v2, 0
	s_waitcnt lgkmcnt(0)
	v_cmp_lt_u64_e64 s0, s[10:11], 2
	s_and_b32 vcc_lo, exec_lo, s0
	s_cbranch_vccnz .LBB0_8
; %bb.1:
	s_load_dwordx2 s[0:1], s[4:5], 0x10
	v_mov_b32_e32 v1, 0
	s_add_u32 s6, s12, 8
	v_mov_b32_e32 v2, 0
	s_addc_u32 s7, s13, 0
	s_mov_b64 s[16:17], 1
	s_waitcnt lgkmcnt(0)
	s_add_u32 s14, s0, 8
	s_addc_u32 s15, s1, 0
.LBB0_2:                                ; =>This Inner Loop Header: Depth=1
	s_load_dwordx2 s[18:19], s[14:15], 0x0
                                        ; implicit-def: $vgpr7_vgpr8
	s_mov_b32 s0, exec_lo
	s_waitcnt lgkmcnt(0)
	v_or_b32_e32 v4, s19, v6
	v_cmpx_ne_u64_e32 0, v[3:4]
	s_xor_b32 s1, exec_lo, s0
	s_cbranch_execz .LBB0_4
; %bb.3:                                ;   in Loop: Header=BB0_2 Depth=1
	v_cvt_f32_u32_e32 v4, s18
	v_cvt_f32_u32_e32 v7, s19
	s_sub_u32 s0, 0, s18
	s_subb_u32 s20, 0, s19
	v_fmac_f32_e32 v4, 0x4f800000, v7
	v_rcp_f32_e32 v4, v4
	v_mul_f32_e32 v4, 0x5f7ffffc, v4
	v_mul_f32_e32 v7, 0x2f800000, v4
	v_trunc_f32_e32 v7, v7
	v_fmac_f32_e32 v4, 0xcf800000, v7
	v_cvt_u32_f32_e32 v7, v7
	v_cvt_u32_f32_e32 v4, v4
	v_mul_lo_u32 v8, s0, v7
	v_mul_hi_u32 v9, s0, v4
	v_mul_lo_u32 v10, s20, v4
	v_add_nc_u32_e32 v8, v9, v8
	v_mul_lo_u32 v9, s0, v4
	v_add_nc_u32_e32 v8, v8, v10
	v_mul_hi_u32 v10, v4, v9
	v_mul_lo_u32 v11, v4, v8
	v_mul_hi_u32 v12, v4, v8
	v_mul_hi_u32 v13, v7, v9
	v_mul_lo_u32 v9, v7, v9
	v_mul_hi_u32 v14, v7, v8
	v_mul_lo_u32 v8, v7, v8
	v_add_co_u32 v10, vcc_lo, v10, v11
	v_add_co_ci_u32_e32 v11, vcc_lo, 0, v12, vcc_lo
	v_add_co_u32 v9, vcc_lo, v10, v9
	v_add_co_ci_u32_e32 v9, vcc_lo, v11, v13, vcc_lo
	v_add_co_ci_u32_e32 v10, vcc_lo, 0, v14, vcc_lo
	v_add_co_u32 v8, vcc_lo, v9, v8
	v_add_co_ci_u32_e32 v9, vcc_lo, 0, v10, vcc_lo
	v_add_co_u32 v4, vcc_lo, v4, v8
	v_add_co_ci_u32_e32 v7, vcc_lo, v7, v9, vcc_lo
	v_mul_hi_u32 v8, s0, v4
	v_mul_lo_u32 v10, s20, v4
	v_mul_lo_u32 v9, s0, v7
	v_add_nc_u32_e32 v8, v8, v9
	v_mul_lo_u32 v9, s0, v4
	v_add_nc_u32_e32 v8, v8, v10
	v_mul_hi_u32 v10, v4, v9
	v_mul_lo_u32 v11, v4, v8
	v_mul_hi_u32 v12, v4, v8
	v_mul_hi_u32 v13, v7, v9
	v_mul_lo_u32 v9, v7, v9
	v_mul_hi_u32 v14, v7, v8
	v_mul_lo_u32 v8, v7, v8
	v_add_co_u32 v10, vcc_lo, v10, v11
	v_add_co_ci_u32_e32 v11, vcc_lo, 0, v12, vcc_lo
	v_add_co_u32 v9, vcc_lo, v10, v9
	v_add_co_ci_u32_e32 v9, vcc_lo, v11, v13, vcc_lo
	v_add_co_ci_u32_e32 v10, vcc_lo, 0, v14, vcc_lo
	v_add_co_u32 v8, vcc_lo, v9, v8
	v_add_co_ci_u32_e32 v9, vcc_lo, 0, v10, vcc_lo
	v_add_co_u32 v4, vcc_lo, v4, v8
	v_add_co_ci_u32_e32 v11, vcc_lo, v7, v9, vcc_lo
	v_mul_hi_u32 v13, v5, v4
	v_mad_u64_u32 v[9:10], null, v6, v4, 0
	v_mad_u64_u32 v[7:8], null, v5, v11, 0
	;; [unrolled: 1-line block ×3, first 2 shown]
	v_add_co_u32 v4, vcc_lo, v13, v7
	v_add_co_ci_u32_e32 v7, vcc_lo, 0, v8, vcc_lo
	v_add_co_u32 v4, vcc_lo, v4, v9
	v_add_co_ci_u32_e32 v4, vcc_lo, v7, v10, vcc_lo
	v_add_co_ci_u32_e32 v7, vcc_lo, 0, v12, vcc_lo
	v_add_co_u32 v4, vcc_lo, v4, v11
	v_add_co_ci_u32_e32 v9, vcc_lo, 0, v7, vcc_lo
	v_mul_lo_u32 v10, s19, v4
	v_mad_u64_u32 v[7:8], null, s18, v4, 0
	v_mul_lo_u32 v11, s18, v9
	v_sub_co_u32 v7, vcc_lo, v5, v7
	v_add3_u32 v8, v8, v11, v10
	v_sub_nc_u32_e32 v10, v6, v8
	v_subrev_co_ci_u32_e64 v10, s0, s19, v10, vcc_lo
	v_add_co_u32 v11, s0, v4, 2
	v_add_co_ci_u32_e64 v12, s0, 0, v9, s0
	v_sub_co_u32 v13, s0, v7, s18
	v_sub_co_ci_u32_e32 v8, vcc_lo, v6, v8, vcc_lo
	v_subrev_co_ci_u32_e64 v10, s0, 0, v10, s0
	v_cmp_le_u32_e32 vcc_lo, s18, v13
	v_cmp_eq_u32_e64 s0, s19, v8
	v_cndmask_b32_e64 v13, 0, -1, vcc_lo
	v_cmp_le_u32_e32 vcc_lo, s19, v10
	v_cndmask_b32_e64 v14, 0, -1, vcc_lo
	v_cmp_le_u32_e32 vcc_lo, s18, v7
	;; [unrolled: 2-line block ×3, first 2 shown]
	v_cndmask_b32_e64 v15, 0, -1, vcc_lo
	v_cmp_eq_u32_e32 vcc_lo, s19, v10
	v_cndmask_b32_e64 v7, v15, v7, s0
	v_cndmask_b32_e32 v10, v14, v13, vcc_lo
	v_add_co_u32 v13, vcc_lo, v4, 1
	v_add_co_ci_u32_e32 v14, vcc_lo, 0, v9, vcc_lo
	v_cmp_ne_u32_e32 vcc_lo, 0, v10
	v_cndmask_b32_e32 v8, v14, v12, vcc_lo
	v_cndmask_b32_e32 v10, v13, v11, vcc_lo
	v_cmp_ne_u32_e32 vcc_lo, 0, v7
	v_cndmask_b32_e32 v8, v9, v8, vcc_lo
	v_cndmask_b32_e32 v7, v4, v10, vcc_lo
.LBB0_4:                                ;   in Loop: Header=BB0_2 Depth=1
	s_andn2_saveexec_b32 s0, s1
	s_cbranch_execz .LBB0_6
; %bb.5:                                ;   in Loop: Header=BB0_2 Depth=1
	v_cvt_f32_u32_e32 v4, s18
	s_sub_i32 s1, 0, s18
	v_rcp_iflag_f32_e32 v4, v4
	v_mul_f32_e32 v4, 0x4f7ffffe, v4
	v_cvt_u32_f32_e32 v4, v4
	v_mul_lo_u32 v7, s1, v4
	v_mul_hi_u32 v7, v4, v7
	v_add_nc_u32_e32 v4, v4, v7
	v_mul_hi_u32 v4, v5, v4
	v_mul_lo_u32 v7, v4, s18
	v_add_nc_u32_e32 v8, 1, v4
	v_sub_nc_u32_e32 v7, v5, v7
	v_subrev_nc_u32_e32 v9, s18, v7
	v_cmp_le_u32_e32 vcc_lo, s18, v7
	v_cndmask_b32_e32 v7, v7, v9, vcc_lo
	v_cndmask_b32_e32 v4, v4, v8, vcc_lo
	v_cmp_le_u32_e32 vcc_lo, s18, v7
	v_add_nc_u32_e32 v8, 1, v4
	v_cndmask_b32_e32 v7, v4, v8, vcc_lo
	v_mov_b32_e32 v8, v3
.LBB0_6:                                ;   in Loop: Header=BB0_2 Depth=1
	s_or_b32 exec_lo, exec_lo, s0
	s_load_dwordx2 s[0:1], s[6:7], 0x0
	v_mul_lo_u32 v4, v8, s18
	v_mul_lo_u32 v11, v7, s19
	v_mad_u64_u32 v[9:10], null, v7, s18, 0
	s_add_u32 s16, s16, 1
	s_addc_u32 s17, s17, 0
	s_add_u32 s6, s6, 8
	s_addc_u32 s7, s7, 0
	;; [unrolled: 2-line block ×3, first 2 shown]
	v_add3_u32 v4, v10, v11, v4
	v_sub_co_u32 v5, vcc_lo, v5, v9
	v_sub_co_ci_u32_e32 v4, vcc_lo, v6, v4, vcc_lo
	s_waitcnt lgkmcnt(0)
	v_mul_lo_u32 v6, s1, v5
	v_mul_lo_u32 v4, s0, v4
	v_mad_u64_u32 v[1:2], null, s0, v5, v[1:2]
	v_cmp_ge_u64_e64 s0, s[16:17], s[10:11]
	s_and_b32 vcc_lo, exec_lo, s0
	v_add3_u32 v2, v6, v2, v4
	s_cbranch_vccnz .LBB0_9
; %bb.7:                                ;   in Loop: Header=BB0_2 Depth=1
	v_mov_b32_e32 v5, v7
	v_mov_b32_e32 v6, v8
	s_branch .LBB0_2
.LBB0_8:
	v_mov_b32_e32 v8, v6
	v_mov_b32_e32 v7, v5
.LBB0_9:
	s_lshl_b64 s[0:1], s[10:11], 3
	v_mul_hi_u32 v3, 0x14afd6b, v0
	s_add_u32 s0, s12, s0
	s_addc_u32 s1, s13, s1
	s_load_dwordx2 s[0:1], s[0:1], 0x0
	s_load_dwordx2 s[4:5], s[4:5], 0x20
	v_mul_u32_u24_e32 v3, 0xc6, v3
	v_sub_nc_u32_e32 v20, v0, v3
	v_lshl_add_u32 v28, v20, 3, 0
	s_waitcnt lgkmcnt(0)
	v_mul_lo_u32 v4, s0, v8
	v_mul_lo_u32 v5, s1, v7
	v_mad_u64_u32 v[1:2], null, s0, v7, v[1:2]
	v_cmp_gt_u64_e32 vcc_lo, s[4:5], v[7:8]
	v_add3_u32 v2, v5, v2, v4
	v_lshlrev_b64 v[22:23], 3, v[1:2]
	s_and_saveexec_b32 s1, vcc_lo
	s_cbranch_execz .LBB0_11
; %bb.10:
	v_mov_b32_e32 v21, 0
	v_add_co_u32 v2, s0, s2, v22
	v_add_co_ci_u32_e64 v3, s0, s3, v23, s0
	v_lshlrev_b64 v[0:1], 3, v[20:21]
	v_add_nc_u32_e32 v21, 0xc00, v28
	v_add_nc_u32_e32 v24, 0x1800, v28
	;; [unrolled: 1-line block ×4, first 2 shown]
	v_add_co_u32 v0, s0, v2, v0
	v_add_co_ci_u32_e64 v1, s0, v3, v1, s0
	v_add_co_u32 v2, s0, 0x800, v0
	v_add_co_ci_u32_e64 v3, s0, 0, v1, s0
	v_add_co_u32 v4, s0, 0x1000, v0
	v_add_co_ci_u32_e64 v5, s0, 0, v1, s0
	v_add_co_u32 v10, s0, 0x1800, v0
	v_add_co_ci_u32_e64 v11, s0, 0, v1, s0
	v_add_co_u32 v12, s0, 0x2000, v0
	v_add_co_ci_u32_e64 v13, s0, 0, v1, s0
	v_add_co_u32 v14, s0, 0x2800, v0
	v_add_co_ci_u32_e64 v15, s0, 0, v1, s0
	s_clause 0x3
	global_load_dwordx2 v[6:7], v[0:1], off
	global_load_dwordx2 v[8:9], v[0:1], off offset:1584
	global_load_dwordx2 v[2:3], v[2:3], off offset:1120
	global_load_dwordx2 v[4:5], v[4:5], off offset:656
	v_add_co_u32 v0, s0, 0x3000, v0
	v_add_co_ci_u32_e64 v1, s0, 0, v1, s0
	s_clause 0x5
	global_load_dwordx2 v[16:17], v[10:11], off offset:192
	global_load_dwordx2 v[10:11], v[10:11], off offset:1776
	;; [unrolled: 1-line block ×6, first 2 shown]
	s_waitcnt vmcnt(8)
	ds_write2_b64 v28, v[6:7], v[8:9] offset1:198
	s_waitcnt vmcnt(6)
	ds_write2_b64 v21, v[2:3], v[4:5] offset0:12 offset1:210
	s_waitcnt vmcnt(4)
	ds_write2_b64 v24, v[16:17], v[10:11] offset0:24 offset1:222
	;; [unrolled: 2-line block ×4, first 2 shown]
.LBB0_11:
	s_or_b32 exec_lo, exec_lo, s1
	s_waitcnt lgkmcnt(0)
	s_barrier
	buffer_gl0_inv
	ds_read2_b64 v[0:3], v28 offset1:180
	ds_read_b64 v[26:27], v28 offset:14400
	v_add_nc_u32_e32 v4, 0xa00, v28
	v_add_nc_u32_e32 v5, 0x2c00, v28
	ds_read2_b64 v[16:19], v4 offset0:40 offset1:220
	ds_read2_b64 v[4:7], v5 offset0:32 offset1:212
	v_add_nc_u32_e32 v8, 0x1600, v28
	v_add_nc_u32_e32 v9, 0x2000, v28
	ds_read2_b64 v[12:15], v8 offset0:16 offset1:196
	ds_read2_b64 v[8:11], v9 offset0:56 offset1:236
	s_mov_b32 s1, exec_lo
	s_waitcnt lgkmcnt(0)
	s_barrier
	buffer_gl0_inv
	v_sub_f32_e32 v42, v3, v27
	v_add_f32_e32 v46, v27, v3
	v_add_f32_e32 v21, v26, v2
	v_sub_f32_e32 v34, v2, v26
	v_mul_f32_e32 v38, 0xbf0a6770, v42
	v_mul_f32_e32 v39, 0x3f575c64, v46
	v_add_f32_e32 v51, v7, v17
	v_sub_f32_e32 v45, v17, v7
	v_add_f32_e32 v29, v6, v16
	v_sub_f32_e32 v30, v16, v6
	;; [unrolled: 2-line block ×3, first 2 shown]
	v_fma_f32 v24, 0x3f575c64, v21, -v38
	v_mul_f32_e32 v44, 0xbf68dda4, v45
	v_fmamk_f32 v25, v34, 0xbf0a6770, v39
	v_mul_f32_e32 v47, 0x3ed4b147, v51
	v_add_f32_e32 v31, v4, v18
	v_sub_f32_e32 v32, v18, v4
	v_sub_f32_e32 v52, v13, v11
	v_mul_f32_e32 v43, 0xbf7d64f0, v50
	v_add_f32_e32 v24, v0, v24
	v_fma_f32 v35, 0x3ed4b147, v29, -v44
	v_mul_f32_e32 v48, 0xbe11bafb, v54
	v_add_f32_e32 v25, v1, v25
	v_fmamk_f32 v36, v30, 0xbf68dda4, v47
	v_add_f32_e32 v56, v11, v13
	v_add_f32_e32 v33, v10, v12
	v_fma_f32 v37, 0xbe11bafb, v31, -v43
	v_add_f32_e32 v24, v35, v24
	v_fmamk_f32 v40, v32, 0xbf7d64f0, v48
	v_add_f32_e32 v25, v36, v25
	v_mul_f32_e32 v41, 0xbf4178ce, v52
	v_sub_f32_e32 v35, v12, v10
	v_mul_f32_e32 v53, 0xbf27a4f4, v56
	v_sub_f32_e32 v55, v15, v9
	v_add_f32_e32 v57, v9, v15
	v_add_f32_e32 v24, v37, v24
	;; [unrolled: 1-line block ×3, first 2 shown]
	v_fma_f32 v58, 0xbf27a4f4, v33, -v41
	v_fmamk_f32 v59, v35, 0xbf4178ce, v53
	v_add_f32_e32 v36, v8, v14
	v_sub_f32_e32 v37, v14, v8
	v_mul_f32_e32 v40, 0xbe903f40, v55
	v_mul_f32_e32 v49, 0xbf75a155, v57
	v_add_f32_e32 v24, v58, v24
	v_add_f32_e32 v25, v59, v25
	v_fma_f32 v58, 0xbf75a155, v36, -v40
	v_fmamk_f32 v59, v37, 0xbe903f40, v49
	v_add_f32_e32 v24, v58, v24
	v_add_f32_e32 v25, v59, v25
	v_cmpx_gt_u32_e32 0xb4, v20
	s_cbranch_execz .LBB0_13
; %bb.12:
	v_add_f32_e32 v3, v1, v3
	v_add_f32_e32 v2, v0, v2
	v_mul_f32_e32 v58, 0xbf75a155, v46
	v_mul_f32_e32 v59, 0x3f575c64, v51
	v_mul_f32_e32 v60, 0x3f0a6770, v45
	v_add_f32_e32 v3, v3, v17
	v_add_f32_e32 v2, v2, v16
	v_mul_f32_e32 v17, 0xbe903f40, v42
	v_mul_f32_e32 v16, 0xbf27a4f4, v54
	v_mul_f32_e32 v61, 0x3f68dda4, v52
	;; [unrolled: 5-line block ×3, first 2 shown]
	v_add_f32_e32 v3, v3, v13
	v_add_f32_e32 v2, v2, v12
	v_fmamk_f32 v12, v34, 0x3e903f40, v58
	v_fmamk_f32 v13, v30, 0xbf0a6770, v59
	v_mul_f32_e32 v63, 0xbf7d64f0, v55
	v_add_f32_e32 v3, v3, v15
	v_add_f32_e32 v2, v2, v14
	v_fmamk_f32 v14, v21, 0xbf75a155, v17
	v_add_f32_e32 v12, v1, v12
	v_fmamk_f32 v15, v29, 0x3f575c64, v60
	v_add_f32_e32 v3, v3, v9
	v_add_f32_e32 v2, v2, v8
	v_fmamk_f32 v8, v32, 0x3f4178ce, v16
	v_add_f32_e32 v12, v13, v12
	v_fmamk_f32 v9, v31, 0xbf27a4f4, v18
	v_add_f32_e32 v3, v3, v11
	v_add_f32_e32 v2, v2, v10
	;; [unrolled: 1-line block ×3, first 2 shown]
	v_fmamk_f32 v10, v35, 0xbf68dda4, v19
	v_add_f32_e32 v8, v8, v12
	v_add_f32_e32 v3, v3, v5
	;; [unrolled: 1-line block ×4, first 2 shown]
	v_fmamk_f32 v4, v33, 0x3ed4b147, v61
	v_mul_f32_e32 v14, 0xbf27a4f4, v46
	v_add_f32_e32 v3, v3, v7
	v_add_f32_e32 v2, v2, v6
	v_fmamk_f32 v6, v37, 0x3f7d64f0, v62
	v_add_f32_e32 v5, v9, v5
	v_add_f32_e32 v7, v10, v8
	v_fmamk_f32 v8, v36, 0xbe11bafb, v63
	v_add_f32_e32 v2, v2, v26
	v_mul_f32_e32 v15, 0xbf4178ce, v42
	v_add_f32_e32 v4, v4, v5
	v_add_f32_e32 v5, v6, v7
	v_fmamk_f32 v6, v34, 0x3f4178ce, v14
	v_mul_f32_e32 v26, 0xbe11bafb, v51
	v_add_f32_e32 v3, v3, v27
	v_add_f32_e32 v4, v8, v4
	v_fmamk_f32 v7, v21, 0xbf27a4f4, v15
	v_mul_f32_e32 v27, 0x3f7d64f0, v45
	v_add_f32_e32 v6, v1, v6
	v_fmamk_f32 v8, v30, 0xbf7d64f0, v26
	v_mul_f32_e32 v64, 0x3f575c64, v54
	;; [unrolled: 3-line block ×10, first 2 shown]
	v_mul_f32_e32 v73, 0xbf7d64f0, v42
	v_add_f32_e32 v7, v7, v6
	v_fmamk_f32 v6, v36, 0x3ed4b147, v71
	v_add_f32_e32 v8, v10, v8
	v_fmamk_f32 v10, v32, 0xbf68dda4, v72
	v_mul_f32_e32 v74, 0x3f575c64, v56
	v_fmamk_f32 v11, v21, 0xbe11bafb, v73
	v_mul_f32_e32 v75, 0x3e903f40, v45
	v_add_f32_e32 v6, v6, v9
	v_add_f32_e32 v8, v10, v8
	v_fmamk_f32 v9, v35, 0x3f0a6770, v74
	v_add_f32_e32 v10, v0, v11
	v_fmamk_f32 v11, v29, 0xbf75a155, v75
	v_mul_f32_e32 v76, 0x3f68dda4, v50
	v_mul_f32_e32 v77, 0xbf0a6770, v52
	v_add_f32_e32 v8, v9, v8
	v_mul_f32_e32 v78, 0xbf27a4f4, v57
	v_add_f32_e32 v9, v11, v10
	v_fmamk_f32 v10, v31, 0x3ed4b147, v76
	v_mul_f32_e32 v79, 0xbf4178ce, v55
	v_mul_f32_e32 v46, 0x3ed4b147, v46
	;; [unrolled: 1-line block ×4, first 2 shown]
	v_add_f32_e32 v9, v10, v9
	v_fmamk_f32 v10, v33, 0x3f575c64, v77
	v_mul_f32_e32 v56, 0xbe11bafb, v56
	v_fmamk_f32 v11, v30, 0x3f4178ce, v51
	v_mul_f32_e32 v42, 0xbf68dda4, v42
	v_mul_f32_e32 v45, 0xbf4178ce, v45
	v_add_f32_e32 v10, v10, v9
	v_fmamk_f32 v9, v37, 0x3f4178ce, v78
	v_mul_f32_e32 v50, 0x3e903f40, v50
	v_mul_f32_e32 v52, 0x3f7d64f0, v52
	v_fmamk_f32 v12, v29, 0xbf27a4f4, v45
	v_mul_f32_e32 v57, 0x3f575c64, v57
	v_add_f32_e32 v9, v9, v8
	v_fmamk_f32 v8, v36, 0xbf27a4f4, v79
	v_mul_f32_e32 v55, 0x3f0a6770, v55
	v_mul_f32_e32 v13, 0xbf68dda4, v30
	v_fma_f32 v17, 0xbf75a155, v21, -v17
	v_fmac_f32_e32 v58, 0xbe903f40, v34
	v_add_f32_e32 v8, v8, v10
	v_fmamk_f32 v10, v34, 0x3f68dda4, v46
	v_sub_f32_e32 v13, v47, v13
	v_add_f32_e32 v17, v0, v17
	v_fma_f32 v18, 0xbf27a4f4, v31, -v18
	v_fmac_f32_e32 v59, 0x3f0a6770, v30
	v_add_f32_e32 v10, v1, v10
	v_fma_f32 v15, 0xbf27a4f4, v21, -v15
	v_fmac_f32_e32 v16, 0xbf4178ce, v32
	v_fmac_f32_e32 v14, 0xbf4178ce, v34
	;; [unrolled: 1-line block ×3, first 2 shown]
	v_add_f32_e32 v10, v11, v10
	v_fmamk_f32 v11, v32, 0xbe903f40, v54
	v_add_f32_e32 v15, v0, v15
	v_add_f32_e32 v14, v1, v14
	v_fmac_f32_e32 v26, 0x3f7d64f0, v30
	v_fmac_f32_e32 v68, 0xbf7d64f0, v34
	v_add_f32_e32 v10, v11, v10
	v_fmamk_f32 v11, v35, 0xbf7d64f0, v56
	v_fmac_f32_e32 v62, 0xbf7d64f0, v37
	v_add_f32_e32 v14, v26, v14
	v_fmac_f32_e32 v64, 0xbf0a6770, v32
	v_add_f32_e32 v26, v1, v68
	v_add_f32_e32 v10, v11, v10
	v_fmamk_f32 v11, v21, 0x3ed4b147, v42
	v_fmac_f32_e32 v70, 0x3e903f40, v30
	v_add_f32_e32 v14, v64, v14
	v_fmac_f32_e32 v66, 0xbe903f40, v35
	v_fmac_f32_e32 v72, 0x3f68dda4, v32
	v_add_f32_e32 v11, v0, v11
	v_fmac_f32_e32 v69, 0x3f68dda4, v37
	v_fmac_f32_e32 v46, 0xbf68dda4, v34
	;; [unrolled: 1-line block ×4, first 2 shown]
	v_add_f32_e32 v11, v12, v11
	v_fmamk_f32 v12, v31, 0xbf75a155, v50
	v_fmac_f32_e32 v74, 0xbf0a6770, v35
	v_fmac_f32_e32 v56, 0x3f7d64f0, v35
	;; [unrolled: 1-line block ×3, first 2 shown]
	v_mad_u32_u24 v30, 0x50, v20, v28
	v_add_f32_e32 v11, v12, v11
	v_fmamk_f32 v12, v33, 0xbe11bafb, v52
	v_add_f32_e32 v12, v12, v11
	v_fmamk_f32 v11, v37, 0xbf0a6770, v57
	v_fmac_f32_e32 v57, 0x3f0a6770, v37
	v_add_f32_e32 v11, v11, v10
	v_fmamk_f32 v10, v36, 0x3f575c64, v55
	v_add_f32_e32 v10, v10, v12
	v_mul_f32_e32 v12, 0xbf0a6770, v34
	v_sub_f32_e32 v12, v39, v12
	v_mul_f32_e32 v39, 0x3f575c64, v21
	v_add_f32_e32 v12, v1, v12
	v_add_f32_e32 v38, v39, v38
	v_mul_f32_e32 v39, 0x3ed4b147, v29
	v_add_f32_e32 v12, v13, v12
	v_mul_f32_e32 v13, 0xbf7d64f0, v32
	v_add_f32_e32 v39, v39, v44
	v_add_f32_e32 v38, v0, v38
	v_fma_f32 v44, 0x3f575c64, v29, -v60
	v_sub_f32_e32 v13, v48, v13
	v_add_f32_e32 v38, v39, v38
	v_mul_f32_e32 v39, 0xbe11bafb, v31
	v_add_f32_e32 v17, v44, v17
	v_add_f32_e32 v12, v13, v12
	v_mul_f32_e32 v13, 0xbf4178ce, v35
	v_add_f32_e32 v39, v39, v43
	v_add_f32_e32 v43, v1, v58
	;; [unrolled: 1-line block ×3, first 2 shown]
	v_sub_f32_e32 v13, v53, v13
	v_fma_f32 v18, 0x3ed4b147, v33, -v61
	v_add_f32_e32 v1, v1, v46
	v_add_f32_e32 v12, v13, v12
	;; [unrolled: 1-line block ×3, first 2 shown]
	v_mul_f32_e32 v38, 0xbf27a4f4, v33
	v_add_f32_e32 v17, v18, v17
	v_fma_f32 v18, 0xbe11bafb, v29, -v27
	v_mul_f32_e32 v39, 0xbe903f40, v37
	v_fma_f32 v27, 0xbf75a155, v33, -v67
	v_add_f32_e32 v38, v38, v41
	v_mul_f32_e32 v41, 0xbf75a155, v36
	v_add_f32_e32 v15, v18, v15
	v_fma_f32 v18, 0x3f575c64, v31, -v65
	v_sub_f32_e32 v39, v49, v39
	v_add_f32_e32 v38, v38, v13
	v_add_f32_e32 v40, v41, v40
	;; [unrolled: 1-line block ×9, first 2 shown]
	v_fma_f32 v27, 0x3ed4b147, v36, -v71
	v_add_f32_e32 v1, v54, v1
	v_add_f32_e32 v16, v19, v16
	v_fma_f32 v19, 0xbe11bafb, v36, -v63
	v_add_f32_e32 v15, v62, v16
	v_add_f32_e32 v16, v70, v26
	v_add_f32_e32 v26, v66, v14
	v_add_f32_e32 v14, v19, v17
	v_add_f32_e32 v38, v72, v16
	v_add_f32_e32 v16, v27, v18
	v_fma_f32 v18, 0xbe11bafb, v21, -v73
	v_fma_f32 v21, 0x3ed4b147, v21, -v42
	v_add_f32_e32 v17, v69, v26
	v_fma_f32 v26, 0xbf75a155, v29, -v75
	v_add_f32_e32 v19, v74, v38
	v_add_f32_e32 v18, v0, v18
	;; [unrolled: 1-line block ×3, first 2 shown]
	v_fma_f32 v21, 0xbf27a4f4, v29, -v45
	v_add_f32_e32 v27, v56, v1
	v_fma_f32 v29, 0x3f575c64, v36, -v55
	v_add_f32_e32 v18, v26, v18
	;; [unrolled: 2-line block ×4, first 2 shown]
	v_add_f32_e32 v19, v57, v27
	v_add_f32_e32 v18, v26, v18
	v_fma_f32 v26, 0x3f575c64, v33, -v77
	v_add_f32_e32 v0, v21, v0
	v_fma_f32 v21, 0xbe11bafb, v33, -v52
	;; [unrolled: 2-line block ×3, first 2 shown]
	v_add_f32_e32 v21, v21, v0
	v_add_f32_e32 v0, v26, v18
	;; [unrolled: 1-line block ×3, first 2 shown]
	ds_write2_b64 v30, v[2:3], v[12:13] offset1:1
	ds_write2_b64 v30, v[10:11], v[8:9] offset0:2 offset1:3
	ds_write2_b64 v30, v[6:7], v[4:5] offset0:4 offset1:5
	;; [unrolled: 1-line block ×4, first 2 shown]
	ds_write_b64 v30, v[24:25] offset:80
.LBB0_13:
	s_or_b32 exec_lo, exec_lo, s1
	v_and_b32_e32 v29, 0xff, v20
	v_add_nc_u32_e32 v1, 0x318, v20
	v_mov_b32_e32 v2, 0xba2f
	v_add_nc_u32_e32 v31, 0xc6, v20
	v_add_nc_u32_e32 v30, 0x18c, v20
	v_mul_lo_u16 v0, 0x75, v29
	v_mov_b32_e32 v32, 3
	v_mul_u32_u24_sdwa v3, v1, v2 dst_sel:DWORD dst_unused:UNUSED_PAD src0_sel:WORD_0 src1_sel:DWORD
	v_add_nc_u32_e32 v21, 0x252, v20
	v_mul_u32_u24_sdwa v33, v31, v2 dst_sel:DWORD dst_unused:UNUSED_PAD src0_sel:WORD_0 src1_sel:DWORD
	v_lshrrev_b16 v0, 8, v0
	v_mul_u32_u24_sdwa v35, v30, v2 dst_sel:DWORD dst_unused:UNUSED_PAD src0_sel:WORD_0 src1_sel:DWORD
	v_lshrrev_b32_e32 v44, 19, v3
	v_mul_u32_u24_sdwa v34, v21, v2 dst_sel:DWORD dst_unused:UNUSED_PAD src0_sel:WORD_0 src1_sel:DWORD
	v_lshrrev_b32_e32 v47, 19, v33
	v_sub_nc_u16 v4, v20, v0
	v_lshrrev_b32_e32 v48, 19, v35
	s_waitcnt lgkmcnt(0)
	s_barrier
	buffer_gl0_inv
	v_lshrrev_b16 v3, 1, v4
	v_mul_lo_u16 v4, v44, 11
	v_lshrrev_b32_e32 v49, 19, v34
	v_mul_lo_u16 v2, v48, 11
	v_add_nc_u32_e32 v8, 0x1800, v28
	v_and_b32_e32 v3, 0x7f, v3
	v_sub_nc_u16 v1, v1, v4
	v_add_nc_u32_e32 v14, 0x2400, v28
	v_sub_nc_u16 v2, v30, v2
	v_add_nc_u32_e32 v36, 0xc00, v28
	v_add_nc_u16 v0, v3, v0
	v_lshlrev_b32_sdwa v45, v32, v1 dst_sel:DWORD dst_unused:UNUSED_PAD src0_sel:DWORD src1_sel:WORD_0
	v_mul_lo_u16 v1, v47, 11
	v_mul_lo_u16 v3, v49, 11
	v_lshlrev_b32_sdwa v52, v32, v2 dst_sel:DWORD dst_unused:UNUSED_PAD src0_sel:DWORD src1_sel:WORD_0
	v_lshrrev_b16 v46, 3, v0
	global_load_dwordx2 v[12:13], v45, s[8:9]
	v_sub_nc_u16 v1, v31, v1
	v_mov_b32_e32 v54, 0xb0
	v_mul_u32_u24_e32 v44, 0xb0, v44
	v_mul_lo_u16 v0, v46, 11
	v_mul_u32_u24_e32 v47, 0xb0, v47
	v_lshlrev_b32_sdwa v51, v32, v1 dst_sel:DWORD dst_unused:UNUSED_PAD src0_sel:DWORD src1_sel:WORD_0
	v_mul_u32_u24_e32 v48, 0xb0, v48
	v_add3_u32 v44, 0, v44, v45
	v_sub_nc_u16 v0, v20, v0
	v_mul_u32_u24_e32 v49, 0xb0, v49
	v_add_nc_u32_e32 v55, 0x1400, v28
	v_add3_u32 v47, 0, v47, v51
	v_add_nc_u32_e32 v56, 0x2800, v28
	v_lshlrev_b32_sdwa v50, v32, v0 dst_sel:DWORD dst_unused:UNUSED_PAD src0_sel:DWORD src1_sel:BYTE_0
	v_sub_nc_u16 v0, v21, v3
	v_add3_u32 v48, 0, v48, v52
	v_cmp_gt_u32_e64 s0, 0x42, v20
	global_load_dwordx2 v[18:19], v50, s[8:9]
	v_lshlrev_b32_sdwa v53, v32, v0 dst_sel:DWORD dst_unused:UNUSED_PAD src0_sel:DWORD src1_sel:WORD_0
	v_add_nc_u32_e32 v0, 0x3000, v28
	s_clause 0x2
	global_load_dwordx2 v[26:27], v51, s[8:9]
	global_load_dwordx2 v[40:41], v52, s[8:9]
	;; [unrolled: 1-line block ×3, first 2 shown]
	ds_read2_b64 v[8:11], v8 offset0:24 offset1:222
	ds_read2_b64 v[4:7], v28 offset1:198
	ds_read2_b64 v[0:3], v0 offset0:48 offset1:246
	ds_read2_b64 v[14:17], v14 offset0:36 offset1:234
	;; [unrolled: 1-line block ×3, first 2 shown]
	v_add3_u32 v49, 0, v49, v53
	s_waitcnt vmcnt(0) lgkmcnt(0)
	s_barrier
	buffer_gl0_inv
	v_mul_f32_e32 v57, v13, v3
	v_mul_f32_e32 v13, v13, v2
	v_fmac_f32_e32 v57, v12, v2
	v_mul_u32_u24_sdwa v2, v46, v54 dst_sel:DWORD dst_unused:UNUSED_PAD src0_sel:WORD_0 src1_sel:DWORD
	v_fma_f32 v3, v12, v3, -v13
	v_sub_f32_e32 v12, v8, v57
	v_add3_u32 v45, 0, v2, v50
	v_sub_f32_e32 v13, v9, v3
	v_fma_f32 v2, v8, 2.0, -v12
	v_mul_f32_e32 v3, v19, v11
	v_mul_f32_e32 v8, v19, v10
	;; [unrolled: 1-line block ×8, first 2 shown]
	v_fmac_f32_e32 v3, v18, v10
	v_fma_f32 v8, v18, v11, -v8
	v_fmac_f32_e32 v19, v26, v14
	v_fma_f32 v11, v26, v15, -v27
	;; [unrolled: 2-line block ×4, first 2 shown]
	v_sub_f32_e32 v0, v4, v3
	v_sub_f32_e32 v1, v5, v8
	;; [unrolled: 1-line block ×8, first 2 shown]
	v_fma_f32 v4, v4, 2.0, -v0
	v_fma_f32 v5, v5, 2.0, -v1
	;; [unrolled: 1-line block ×9, first 2 shown]
	ds_write2_b64 v45, v[4:5], v[0:1] offset1:11
	ds_write2_b64 v47, v[6:7], v[10:11] offset1:11
	;; [unrolled: 1-line block ×5, first 2 shown]
	s_waitcnt lgkmcnt(0)
	s_barrier
	buffer_gl0_inv
	ds_read2_b64 v[0:3], v28 offset1:198
	ds_read2_b64 v[8:11], v55 offset0:20 offset1:218
	ds_read2_b64 v[4:7], v56 offset0:40 offset1:238
	ds_read_b64 v[18:19], v28 offset:3168
	ds_read_b64 v[16:17], v28 offset:8448
	;; [unrolled: 1-line block ×3, first 2 shown]
                                        ; implicit-def: $vgpr27
	s_and_saveexec_b32 s1, s0
	s_cbranch_execz .LBB0_15
; %bb.14:
	ds_read_b64 v[12:13], v28 offset:4752
	ds_read_b64 v[24:25], v28 offset:10032
	;; [unrolled: 1-line block ×3, first 2 shown]
.LBB0_15:
	s_or_b32 exec_lo, exec_lo, s1
	v_lshrrev_b16 v37, 1, v20
	v_lshrrev_b32_e32 v52, 20, v35
	v_lshrrev_b32_e32 v34, 20, v34
	v_mov_b32_e32 v44, 4
	v_lshrrev_b32_e32 v33, 20, v33
	v_and_b32_e32 v40, 0x7f, v37
	v_mul_lo_u16 v35, v52, 22
	v_mul_lo_u16 v36, v34, 22
	v_mov_b32_e32 v57, 0x210
	v_mul_lo_u16 v46, v33, 22
	v_mul_lo_u16 v45, 0xbb, v40
	v_sub_nc_u16 v53, v30, v35
	v_sub_nc_u16 v35, v21, v36
	v_mul_u32_u24_e32 v52, 0x210, v52
	v_sub_nc_u16 v56, v31, v46
	v_lshrrev_b16 v54, 11, v45
	v_lshlrev_b32_sdwa v36, v44, v53 dst_sel:DWORD dst_unused:UNUSED_PAD src0_sel:DWORD src1_sel:WORD_0
	v_lshlrev_b32_sdwa v41, v44, v35 dst_sel:DWORD dst_unused:UNUSED_PAD src0_sel:DWORD src1_sel:WORD_0
	;; [unrolled: 1-line block ×4, first 2 shown]
	v_mul_lo_u16 v45, v54, 22
	s_clause 0x1
	global_load_dwordx4 v[36:39], v36, s[8:9] offset:88
	global_load_dwordx4 v[40:43], v41, s[8:9] offset:88
	v_lshlrev_b32_sdwa v56, v32, v56 dst_sel:DWORD dst_unused:UNUSED_PAD src0_sel:DWORD src1_sel:WORD_0
	v_mul_u32_u24_sdwa v54, v54, v57 dst_sel:DWORD dst_unused:UNUSED_PAD src0_sel:WORD_0 src1_sel:DWORD
	v_sub_nc_u16 v55, v20, v45
	v_mul_u32_u24_e32 v33, 0x210, v33
	v_add3_u32 v52, 0, v52, v53
	v_lshlrev_b32_sdwa v45, v44, v55 dst_sel:DWORD dst_unused:UNUSED_PAD src0_sel:DWORD src1_sel:BYTE_0
	v_lshlrev_b32_sdwa v32, v32, v55 dst_sel:DWORD dst_unused:UNUSED_PAD src0_sel:DWORD src1_sel:BYTE_0
	v_add3_u32 v33, 0, v33, v56
	s_clause 0x1
	global_load_dwordx4 v[44:47], v45, s[8:9] offset:88
	global_load_dwordx4 v[48:51], v48, s[8:9] offset:88
	v_add3_u32 v32, 0, v54, v32
	s_waitcnt vmcnt(0) lgkmcnt(0)
	s_barrier
	buffer_gl0_inv
	v_mul_f32_e32 v53, v37, v17
	v_mul_f32_e32 v54, v39, v15
	;; [unrolled: 1-line block ×8, first 2 shown]
	v_fmac_f32_e32 v53, v36, v16
	v_fmac_f32_e32 v54, v38, v14
	;; [unrolled: 1-line block ×4, first 2 shown]
	v_fma_f32 v16, v36, v17, -v37
	v_fma_f32 v14, v38, v15, -v39
	;; [unrolled: 1-line block ×4, first 2 shown]
	v_add_f32_e32 v24, v18, v53
	v_add_f32_e32 v25, v53, v54
	v_sub_f32_e32 v36, v53, v54
	v_mul_f32_e32 v43, v45, v9
	v_mul_f32_e32 v45, v45, v8
	;; [unrolled: 1-line block ×4, first 2 shown]
	v_add_f32_e32 v37, v12, v55
	v_add_f32_e32 v38, v55, v56
	v_sub_f32_e32 v42, v55, v56
	v_mul_f32_e32 v55, v49, v11
	v_mul_f32_e32 v49, v49, v10
	;; [unrolled: 1-line block ×4, first 2 shown]
	v_sub_f32_e32 v26, v16, v14
	v_add_f32_e32 v27, v19, v16
	v_add_f32_e32 v16, v16, v14
	v_fma_f32 v18, -0.5, v25, v18
	v_fmac_f32_e32 v43, v44, v8
	v_fma_f32 v8, v44, v9, -v45
	v_fmac_f32_e32 v53, v46, v4
	v_fma_f32 v9, v46, v5, -v47
	v_sub_f32_e32 v39, v15, v17
	v_add_f32_e32 v40, v13, v15
	v_fmac_f32_e32 v12, -0.5, v38
	v_fmac_f32_e32 v55, v48, v10
	v_fma_f32 v10, v48, v11, -v49
	v_fmac_f32_e32 v57, v50, v6
	v_fma_f32 v11, v50, v7, -v51
	v_add_f32_e32 v41, v15, v17
	v_add_f32_e32 v25, v27, v14
	v_fmac_f32_e32 v19, -0.5, v16
	v_fmamk_f32 v4, v26, 0xbf5db3d7, v18
	v_fmac_f32_e32 v18, 0x3f5db3d7, v26
	v_add_f32_e32 v7, v43, v53
	v_sub_f32_e32 v26, v8, v9
	v_add_f32_e32 v27, v1, v8
	v_add_f32_e32 v8, v8, v9
	v_add_f32_e32 v15, v40, v17
	v_fmamk_f32 v16, v39, 0xbf5db3d7, v12
	v_fmac_f32_e32 v12, 0x3f5db3d7, v39
	v_add_f32_e32 v38, v55, v57
	v_sub_f32_e32 v39, v10, v11
	v_add_f32_e32 v40, v3, v10
	v_add_f32_e32 v10, v10, v11
	v_fmac_f32_e32 v13, -0.5, v41
	v_fmamk_f32 v5, v36, 0x3f5db3d7, v19
	v_fmac_f32_e32 v19, 0xbf5db3d7, v36
	v_add_f32_e32 v6, v0, v43
	v_sub_f32_e32 v36, v43, v53
	v_fma_f32 v0, -0.5, v7, v0
	v_fma_f32 v1, -0.5, v8, v1
	v_add_f32_e32 v14, v37, v56
	v_add_f32_e32 v37, v2, v55
	v_sub_f32_e32 v41, v55, v57
	v_fma_f32 v2, -0.5, v38, v2
	v_fmac_f32_e32 v3, -0.5, v10
	v_fmamk_f32 v17, v42, 0x3f5db3d7, v13
	v_add_f32_e32 v6, v6, v53
	v_add_f32_e32 v7, v27, v9
	;; [unrolled: 1-line block ×3, first 2 shown]
	v_fmamk_f32 v10, v26, 0xbf5db3d7, v0
	v_fmamk_f32 v11, v36, 0x3f5db3d7, v1
	v_fmac_f32_e32 v13, 0xbf5db3d7, v42
	v_fmac_f32_e32 v0, 0x3f5db3d7, v26
	;; [unrolled: 1-line block ×3, first 2 shown]
	v_add_f32_e32 v8, v37, v57
	v_fmamk_f32 v26, v39, 0xbf5db3d7, v2
	v_fmamk_f32 v27, v41, 0x3f5db3d7, v3
	v_fmac_f32_e32 v2, 0x3f5db3d7, v39
	v_fmac_f32_e32 v3, 0xbf5db3d7, v41
	v_add_f32_e32 v24, v24, v54
	ds_write2_b64 v32, v[6:7], v[10:11] offset1:22
	ds_write_b64 v32, v[0:1] offset:352
	ds_write2_b64 v33, v[8:9], v[26:27] offset1:22
	ds_write_b64 v33, v[2:3] offset:352
	;; [unrolled: 2-line block ×3, first 2 shown]
	s_and_saveexec_b32 s1, s0
	s_cbranch_execz .LBB0_17
; %bb.16:
	v_mov_b32_e32 v0, 3
	v_mul_lo_u16 v1, 0x42, v34
	v_lshlrev_b32_sdwa v2, v0, v35 dst_sel:DWORD dst_unused:UNUSED_PAD src0_sel:DWORD src1_sel:WORD_0
	v_lshlrev_b32_sdwa v0, v0, v1 dst_sel:DWORD dst_unused:UNUSED_PAD src0_sel:DWORD src1_sel:WORD_0
	v_add3_u32 v0, 0, v2, v0
	ds_write2_b64 v0, v[14:15], v[16:17] offset1:22
	ds_write_b64 v0, v[12:13] offset:352
.LBB0_17:
	s_or_b32 exec_lo, exec_lo, s1
	v_add_nc_u32_e32 v4, 0x1400, v28
	v_add_nc_u32_e32 v5, 0x2800, v28
	s_waitcnt lgkmcnt(0)
	s_barrier
	buffer_gl0_inv
	ds_read2_b64 v[0:3], v28 offset1:198
	ds_read2_b64 v[8:11], v4 offset0:20 offset1:218
	ds_read2_b64 v[4:7], v5 offset0:40 offset1:238
	ds_read_b64 v[18:19], v28 offset:3168
	ds_read_b64 v[26:27], v28 offset:8448
	;; [unrolled: 1-line block ×3, first 2 shown]
	s_and_saveexec_b32 s1, s0
	s_cbranch_execz .LBB0_19
; %bb.18:
	ds_read_b64 v[14:15], v28 offset:4752
	ds_read_b64 v[16:17], v28 offset:10032
	;; [unrolled: 1-line block ×3, first 2 shown]
.LBB0_19:
	s_or_b32 exec_lo, exec_lo, s1
	v_mul_lo_u16 v32, 0xf9, v29
	v_mov_b32_e32 v29, 0xf83f
	v_mov_b32_e32 v35, 4
	;; [unrolled: 1-line block ×4, first 2 shown]
	v_lshrrev_b16 v43, 14, v32
	v_mul_u32_u24_sdwa v32, v31, v29 dst_sel:DWORD dst_unused:UNUSED_PAD src0_sel:WORD_0 src1_sel:DWORD
	v_mul_u32_u24_sdwa v34, v30, v29 dst_sel:DWORD dst_unused:UNUSED_PAD src0_sel:WORD_0 src1_sel:DWORD
	v_mul_lo_u16 v33, 0x42, v43
	v_lshrrev_b32_e32 v44, 22, v32
	v_lshrrev_b32_e32 v46, 22, v34
	v_mul_u32_u24_sdwa v43, v43, v48 dst_sel:DWORD dst_unused:UNUSED_PAD src0_sel:WORD_0 src1_sel:DWORD
	v_sub_nc_u16 v45, v20, v33
	v_mul_lo_u16 v32, 0x42, v44
	v_mul_lo_u16 v36, 0x42, v46
	v_mul_u32_u24_e32 v44, 0x630, v44
	v_mul_u32_u24_e32 v46, 0x630, v46
	v_lshlrev_b32_sdwa v33, v35, v45 dst_sel:DWORD dst_unused:UNUSED_PAD src0_sel:DWORD src1_sel:BYTE_0
	v_sub_nc_u16 v47, v31, v32
	v_sub_nc_u16 v30, v30, v36
	v_lshlrev_b32_sdwa v45, v49, v45 dst_sel:DWORD dst_unused:UNUSED_PAD src0_sel:DWORD src1_sel:BYTE_0
	global_load_dwordx4 v[31:34], v33, s[8:9] offset:440
	v_lshlrev_b32_sdwa v36, v35, v47 dst_sel:DWORD dst_unused:UNUSED_PAD src0_sel:DWORD src1_sel:WORD_0
	v_lshlrev_b32_sdwa v39, v35, v30 dst_sel:DWORD dst_unused:UNUSED_PAD src0_sel:DWORD src1_sel:WORD_0
	v_add3_u32 v43, 0, v43, v45
	v_lshlrev_b32_sdwa v45, v49, v47 dst_sel:DWORD dst_unused:UNUSED_PAD src0_sel:DWORD src1_sel:WORD_0
	s_clause 0x1
	global_load_dwordx4 v[35:38], v36, s[8:9] offset:440
	global_load_dwordx4 v[39:42], v39, s[8:9] offset:440
	v_lshlrev_b32_sdwa v30, v49, v30 dst_sel:DWORD dst_unused:UNUSED_PAD src0_sel:DWORD src1_sel:WORD_0
	s_waitcnt vmcnt(0) lgkmcnt(0)
	v_add3_u32 v44, 0, v44, v45
	s_barrier
	buffer_gl0_inv
	v_add3_u32 v30, 0, v46, v30
	v_mul_f32_e32 v45, v32, v9
	v_mul_f32_e32 v32, v32, v8
	;; [unrolled: 1-line block ×4, first 2 shown]
	v_fmac_f32_e32 v45, v31, v8
	v_fma_f32 v8, v31, v9, -v32
	v_fmac_f32_e32 v47, v33, v4
	v_fma_f32 v5, v33, v5, -v34
	v_mul_f32_e32 v9, v36, v11
	v_mul_f32_e32 v4, v36, v10
	;; [unrolled: 1-line block ×8, first 2 shown]
	v_fmac_f32_e32 v9, v35, v10
	v_fma_f32 v10, v35, v11, -v4
	v_fmac_f32_e32 v31, v37, v6
	v_fma_f32 v11, v37, v7, -v32
	v_fmac_f32_e32 v33, v39, v26
	v_add_f32_e32 v26, v1, v8
	v_fma_f32 v6, v39, v27, -v34
	v_fmac_f32_e32 v36, v41, v24
	v_fma_f32 v24, v41, v25, -v38
	v_add_f32_e32 v7, v45, v47
	v_sub_f32_e32 v25, v8, v5
	v_add_f32_e32 v8, v8, v5
	v_add_f32_e32 v5, v26, v5
	;; [unrolled: 1-line block ×3, first 2 shown]
	v_sub_f32_e32 v32, v10, v11
	v_add_f32_e32 v34, v3, v10
	v_add_f32_e32 v10, v10, v11
	;; [unrolled: 1-line block ×5, first 2 shown]
	v_sub_f32_e32 v27, v45, v47
	v_fma_f32 v0, -0.5, v7, v0
	v_fma_f32 v1, -0.5, v8, v1
	v_add_f32_e32 v8, v2, v9
	v_sub_f32_e32 v35, v9, v31
	v_add_f32_e32 v40, v19, v6
	v_fma_f32 v2, -0.5, v26, v2
	v_fmac_f32_e32 v3, -0.5, v10
	v_add_f32_e32 v37, v18, v33
	v_sub_f32_e32 v39, v6, v24
	v_sub_f32_e32 v33, v33, v36
	v_fma_f32 v18, -0.5, v38, v18
	v_fmac_f32_e32 v19, -0.5, v41
	v_add_f32_e32 v4, v4, v47
	v_fmamk_f32 v6, v25, 0xbf5db3d7, v0
	v_fmamk_f32 v7, v27, 0x3f5db3d7, v1
	v_fmac_f32_e32 v0, 0x3f5db3d7, v25
	v_fmac_f32_e32 v1, 0xbf5db3d7, v27
	v_add_f32_e32 v8, v8, v31
	v_add_f32_e32 v9, v34, v11
	;; [unrolled: 1-line block ×3, first 2 shown]
	v_fmamk_f32 v24, v32, 0xbf5db3d7, v2
	v_fmamk_f32 v25, v35, 0x3f5db3d7, v3
	v_fmac_f32_e32 v2, 0x3f5db3d7, v32
	v_fmac_f32_e32 v3, 0xbf5db3d7, v35
	v_add_f32_e32 v10, v37, v36
	v_fmamk_f32 v26, v39, 0xbf5db3d7, v18
	v_fmamk_f32 v27, v33, 0x3f5db3d7, v19
	v_fmac_f32_e32 v18, 0x3f5db3d7, v39
	v_fmac_f32_e32 v19, 0xbf5db3d7, v33
	ds_write2_b64 v43, v[4:5], v[6:7] offset1:66
	ds_write_b64 v43, v[0:1] offset:1056
	ds_write2_b64 v44, v[8:9], v[24:25] offset1:66
	ds_write_b64 v44, v[2:3] offset:1056
	;; [unrolled: 2-line block ×3, first 2 shown]
	s_and_saveexec_b32 s1, s0
	s_cbranch_execz .LBB0_21
; %bb.20:
	v_mul_u32_u24_sdwa v0, v21, v29 dst_sel:DWORD dst_unused:UNUSED_PAD src0_sel:WORD_0 src1_sel:DWORD
	v_lshrrev_b32_e32 v0, 22, v0
	v_mul_lo_u16 v0, 0x42, v0
	v_sub_nc_u16 v0, v21, v0
	v_and_b32_e32 v4, 0xffff, v0
	v_lshlrev_b32_e32 v0, 4, v4
	v_lshl_add_u32 v8, v4, 3, 0
	global_load_dwordx4 v[0:3], v0, s[8:9] offset:440
	s_waitcnt vmcnt(0)
	v_mul_f32_e32 v5, v16, v1
	v_mul_f32_e32 v6, v12, v3
	v_mul_f32_e32 v1, v17, v1
	v_mul_f32_e32 v7, v13, v3
	v_fma_f32 v3, v17, v0, -v5
	v_fma_f32 v4, v13, v2, -v6
	v_fmac_f32_e32 v1, v16, v0
	v_fmac_f32_e32 v7, v12, v2
	v_add_nc_u32_e32 v6, 0x3400, v8
	v_add_f32_e32 v5, v15, v3
	v_add_f32_e32 v0, v3, v4
	;; [unrolled: 1-line block ×4, first 2 shown]
	v_sub_f32_e32 v9, v1, v7
	v_sub_f32_e32 v11, v3, v4
	v_fma_f32 v1, -0.5, v0, v15
	v_add_f32_e32 v3, v5, v4
	v_fma_f32 v0, -0.5, v2, v14
	v_add_f32_e32 v2, v10, v7
	v_fmamk_f32 v5, v9, 0xbf5db3d7, v1
	v_fmac_f32_e32 v1, 0x3f5db3d7, v9
	v_fmamk_f32 v4, v11, 0x3f5db3d7, v0
	v_fmac_f32_e32 v0, 0xbf5db3d7, v11
	ds_write2_b64 v6, v[2:3], v[0:1] offset0:118 offset1:184
	ds_write_b64 v8, v[4:5] offset:15312
.LBB0_21:
	s_or_b32 exec_lo, exec_lo, s1
	v_lshlrev_b32_e32 v0, 2, v20
	v_mov_b32_e32 v1, 0
	s_waitcnt lgkmcnt(0)
	s_barrier
	buffer_gl0_inv
	v_add_nc_u32_e32 v43, 0x2400, v28
	v_lshlrev_b64 v[2:3], 3, v[0:1]
	v_add_nc_u32_e32 v44, 0x3000, v28
	v_mov_b32_e32 v21, v1
	s_add_u32 s1, s8, 0x3d88
	s_addc_u32 s4, s9, 0
	s_mov_b32 s5, exec_lo
	v_add_co_u32 v2, s0, s8, v2
	v_add_co_ci_u32_e64 v3, s0, s9, v3, s0
	v_lshlrev_b64 v[0:1], 3, v[20:21]
	s_clause 0x1
	global_load_dwordx4 v[4:7], v[2:3], off offset:1496
	global_load_dwordx4 v[8:11], v[2:3], off offset:1512
	v_add_nc_u32_e32 v2, 0xc00, v28
	v_add_nc_u32_e32 v3, 0x1800, v28
	ds_read2_b64 v[12:15], v28 offset1:198
	ds_read2_b64 v[16:19], v2 offset0:12 offset1:210
	ds_read2_b64 v[24:27], v3 offset0:24 offset1:222
	;; [unrolled: 1-line block ×4, first 2 shown]
	v_add_co_u32 v21, s0, s8, v0
	v_add_co_ci_u32_e64 v45, s0, s9, v1, s0
	s_waitcnt vmcnt(0) lgkmcnt(0)
	v_add_co_u32 v37, s0, 0x1800, v21
	v_add_co_ci_u32_e64 v38, s0, 0, v45, s0
	v_add_co_u32 v39, s0, 0x2000, v21
	v_add_co_ci_u32_e64 v40, s0, 0, v45, s0
	v_add_co_u32 v41, s0, 0x2800, v21
	v_add_co_ci_u32_e64 v42, s0, 0, v45, s0
	s_barrier
	buffer_gl0_inv
	v_mul_f32_e32 v46, v5, v17
	v_mul_f32_e32 v47, v5, v16
	;; [unrolled: 1-line block ×16, first 2 shown]
	v_fmac_f32_e32 v46, v4, v16
	v_fma_f32 v16, v4, v17, -v47
	v_fmac_f32_e32 v48, v6, v24
	v_fma_f32 v17, v6, v25, -v49
	;; [unrolled: 2-line block ×8, first 2 shown]
	v_add_f32_e32 v5, v12, v46
	v_add_f32_e32 v6, v48, v50
	v_sub_f32_e32 v10, v48, v46
	v_sub_f32_e32 v11, v50, v52
	v_add_f32_e32 v30, v13, v16
	v_add_f32_e32 v31, v17, v24
	v_sub_f32_e32 v7, v46, v48
	v_sub_f32_e32 v8, v52, v50
	;; [unrolled: 4-line block ×3, first 2 shown]
	v_sub_f32_e32 v34, v16, v17
	v_sub_f32_e32 v16, v17, v16
	;; [unrolled: 1-line block ×3, first 2 shown]
	v_add_f32_e32 v47, v14, v54
	v_add_f32_e32 v49, v55, v56
	;; [unrolled: 1-line block ×6, first 2 shown]
	v_sub_f32_e32 v33, v48, v50
	v_sub_f32_e32 v51, v4, v27
	;; [unrolled: 1-line block ×4, first 2 shown]
	v_add_f32_e32 v48, v5, v48
	v_fma_f32 v4, -0.5, v6, v12
	v_add_f32_e32 v72, v10, v11
	v_add_f32_e32 v11, v30, v17
	v_fma_f32 v5, -0.5, v31, v13
	v_sub_f32_e32 v29, v17, v24
	v_add_f32_e32 v71, v7, v8
	v_fma_f32 v6, -0.5, v9, v12
	v_fma_f32 v7, -0.5, v36, v13
	v_sub_f32_e32 v53, v18, v19
	v_sub_f32_e32 v58, v54, v55
	v_sub_f32_e32 v61, v55, v54
	v_sub_f32_e32 v54, v54, v57
	v_sub_f32_e32 v65, v55, v56
	v_add_f32_e32 v31, v16, v46
	v_add_f32_e32 v16, v47, v55
	v_fma_f32 v8, -0.5, v49, v14
	v_fma_f32 v14, -0.5, v60, v14
	v_add_f32_e32 v17, v63, v18
	v_fma_f32 v9, -0.5, v64, v15
	v_fmac_f32_e32 v15, -0.5, v68
	v_sub_f32_e32 v35, v25, v24
	v_add_f32_e32 v47, v48, v50
	v_fmamk_f32 v10, v26, 0xbf737871, v4
	v_add_f32_e32 v48, v11, v24
	v_fmamk_f32 v11, v32, 0x3f737871, v5
	v_fmamk_f32 v12, v29, 0x3f737871, v6
	v_fmac_f32_e32 v6, 0xbf737871, v29
	v_fmamk_f32 v13, v33, 0xbf737871, v7
	v_fmac_f32_e32 v7, 0x3f737871, v33
	v_fmac_f32_e32 v4, 0x3f737871, v26
	;; [unrolled: 1-line block ×3, first 2 shown]
	v_sub_f32_e32 v59, v57, v56
	v_sub_f32_e32 v62, v56, v57
	;; [unrolled: 1-line block ×4, first 2 shown]
	v_add_f32_e32 v49, v16, v56
	v_fmamk_f32 v16, v51, 0xbf737871, v8
	v_fmamk_f32 v18, v53, 0x3f737871, v14
	v_add_f32_e32 v50, v17, v19
	v_fmamk_f32 v17, v54, 0x3f737871, v9
	v_fmamk_f32 v19, v65, 0xbf737871, v15
	v_fmac_f32_e32 v8, 0x3f737871, v51
	v_fmac_f32_e32 v14, 0xbf737871, v53
	;; [unrolled: 1-line block ×4, first 2 shown]
	v_add_f32_e32 v30, v34, v35
	v_fmac_f32_e32 v10, 0xbf167918, v29
	v_fmac_f32_e32 v11, 0x3f167918, v33
	;; [unrolled: 1-line block ×8, first 2 shown]
	v_add_f32_e32 v34, v58, v59
	v_add_f32_e32 v35, v61, v62
	v_add_f32_e32 v36, v66, v67
	v_add_f32_e32 v46, v69, v70
	v_fmac_f32_e32 v16, 0xbf167918, v53
	v_fmac_f32_e32 v18, 0xbf167918, v51
	;; [unrolled: 1-line block ×8, first 2 shown]
	v_add_f32_e32 v24, v47, v52
	v_add_f32_e32 v25, v48, v25
	v_fmac_f32_e32 v10, 0x3e9e377a, v71
	v_fmac_f32_e32 v11, 0x3e9e377a, v30
	;; [unrolled: 1-line block ×6, first 2 shown]
	v_add_f32_e32 v26, v49, v57
	v_add_f32_e32 v27, v50, v27
	v_fmac_f32_e32 v4, 0x3e9e377a, v71
	v_fmac_f32_e32 v5, 0x3e9e377a, v30
	v_fmac_f32_e32 v16, 0x3e9e377a, v34
	v_fmac_f32_e32 v18, 0x3e9e377a, v35
	v_fmac_f32_e32 v17, 0x3e9e377a, v36
	v_fmac_f32_e32 v19, 0x3e9e377a, v46
	v_fmac_f32_e32 v8, 0x3e9e377a, v34
	v_fmac_f32_e32 v14, 0x3e9e377a, v35
	v_fmac_f32_e32 v9, 0x3e9e377a, v36
	v_fmac_f32_e32 v15, 0x3e9e377a, v46
	ds_write2_b64 v28, v[24:25], v[10:11] offset1:198
	ds_write2_b64 v2, v[12:13], v[6:7] offset0:12 offset1:210
	ds_write2_b64 v3, v[4:5], v[26:27] offset0:24 offset1:222
	ds_write2_b64 v43, v[16:17], v[18:19] offset0:36 offset1:234
	ds_write2_b64 v44, v[14:15], v[8:9] offset0:48 offset1:246
	v_add_co_u32 v4, s0, 0x3000, v21
	v_add_co_ci_u32_e64 v5, s0, 0, v45, s0
	s_waitcnt lgkmcnt(0)
	s_barrier
	buffer_gl0_inv
	s_clause 0x4
	global_load_dwordx2 v[29:30], v[37:38], off offset:1688
	global_load_dwordx2 v[31:32], v[39:40], off offset:1224
	;; [unrolled: 1-line block ×5, first 2 shown]
	ds_read2_b64 v[4:7], v3 offset0:24 offset1:222
	ds_read2_b64 v[8:11], v43 offset0:36 offset1:234
	;; [unrolled: 1-line block ×3, first 2 shown]
	ds_read2_b64 v[16:19], v28 offset1:198
	ds_read2_b64 v[24:27], v2 offset0:12 offset1:210
	s_waitcnt vmcnt(0) lgkmcnt(0)
	s_barrier
	buffer_gl0_inv
	v_mul_f32_e32 v39, v32, v9
	v_mul_f32_e32 v32, v32, v8
	;; [unrolled: 1-line block ×10, first 2 shown]
	v_fmac_f32_e32 v21, v29, v6
	v_fma_f32 v7, v29, v7, -v30
	v_fmac_f32_e32 v39, v31, v8
	v_fma_f32 v9, v31, v9, -v32
	;; [unrolled: 2-line block ×5, first 2 shown]
	v_sub_f32_e32 v6, v16, v21
	v_sub_f32_e32 v7, v17, v7
	;; [unrolled: 1-line block ×10, first 2 shown]
	v_fma_f32 v16, v16, 2.0, -v6
	v_fma_f32 v17, v17, 2.0, -v7
	;; [unrolled: 1-line block ×10, first 2 shown]
	ds_write2_b64 v43, v[8:9], v[10:11] offset0:36 offset1:234
	ds_write2_b64 v44, v[12:13], v[14:15] offset0:48 offset1:246
	ds_write2_b64 v28, v[16:17], v[18:19] offset1:198
	ds_write2_b64 v2, v[24:25], v[26:27] offset0:12 offset1:210
	ds_write2_b64 v3, v[4:5], v[6:7] offset0:24 offset1:222
	s_waitcnt lgkmcnt(0)
	s_barrier
	buffer_gl0_inv
	ds_read_b64 v[4:5], v28
	v_lshlrev_b32_e32 v2, 3, v20
                                        ; implicit-def: $vgpr7
                                        ; implicit-def: $vgpr8
	v_sub_nc_u32_e32 v6, 0, v2
                                        ; implicit-def: $vgpr2
	v_cmpx_ne_u32_e32 0, v20
	s_xor_b32 s5, exec_lo, s5
	s_cbranch_execz .LBB0_23
; %bb.22:
	v_add_co_u32 v2, s0, s1, v0
	v_add_co_ci_u32_e64 v3, s0, s4, v1, s0
	global_load_dwordx2 v[9:10], v[2:3], off
	ds_read_b64 v[2:3], v6 offset:15840
	s_waitcnt lgkmcnt(0)
	v_sub_f32_e32 v7, v4, v2
	v_add_f32_e32 v8, v3, v5
	v_sub_f32_e32 v3, v5, v3
	v_add_f32_e32 v2, v2, v4
	v_mul_f32_e32 v5, 0.5, v7
	v_mul_f32_e32 v4, 0.5, v8
	;; [unrolled: 1-line block ×3, first 2 shown]
	s_waitcnt vmcnt(0)
	v_mul_f32_e32 v8, v10, v5
	v_fma_f32 v11, v4, v10, v3
	v_fma_f32 v3, v4, v10, -v3
	v_fma_f32 v7, 0.5, v2, v8
	v_fma_f32 v2, v2, 0.5, -v8
	v_fma_f32 v8, -v9, v5, v11
	v_fma_f32 v3, -v9, v5, v3
	v_fmac_f32_e32 v7, v9, v4
	v_fma_f32 v2, -v9, v4, v2
                                        ; implicit-def: $vgpr4_vgpr5
.LBB0_23:
	s_andn2_saveexec_b32 s0, s5
	s_cbranch_execz .LBB0_25
; %bb.24:
	v_mov_b32_e32 v8, 0
	s_waitcnt lgkmcnt(0)
	v_add_f32_e32 v7, v4, v5
	v_sub_f32_e32 v2, v4, v5
	ds_read_b32 v3, v8 offset:7924
	s_waitcnt lgkmcnt(0)
	v_xor_b32_e32 v4, 0x80000000, v3
	v_mov_b32_e32 v3, 0
	ds_write_b32 v8, v4 offset:7924
.LBB0_25:
	s_or_b32 exec_lo, exec_lo, s0
	s_waitcnt lgkmcnt(0)
	v_add_co_u32 v4, s0, s1, v0
	v_add_co_ci_u32_e64 v5, s0, s4, v1, s0
	v_add_co_u32 v11, s0, 0x800, v4
	global_load_dwordx2 v[9:10], v[4:5], off offset:1584
	v_add_co_ci_u32_e64 v12, s0, 0, v5, s0
	v_add_co_u32 v13, s0, 0x1000, v4
	v_add_co_ci_u32_e64 v14, s0, 0, v5, s0
	s_clause 0x1
	global_load_dwordx2 v[11:12], v[11:12], off offset:1120
	global_load_dwordx2 v[13:14], v[13:14], off offset:656
	v_add_co_u32 v4, s0, 0x1800, v4
	v_add_co_ci_u32_e64 v5, s0, 0, v5, s0
	global_load_dwordx2 v[15:16], v[4:5], off offset:192
	ds_write2_b32 v28, v7, v8 offset1:1
	ds_write_b64 v6, v[2:3] offset:15840
	ds_read_b64 v[2:3], v28 offset:1584
	ds_read_b64 v[4:5], v6 offset:14256
	s_waitcnt lgkmcnt(0)
	v_sub_f32_e32 v7, v2, v4
	v_add_f32_e32 v8, v3, v5
	v_sub_f32_e32 v3, v3, v5
	v_add_f32_e32 v2, v2, v4
	v_mul_f32_e32 v5, 0.5, v7
	v_mul_f32_e32 v7, 0.5, v8
	v_mul_f32_e32 v3, 0.5, v3
	s_waitcnt vmcnt(3)
	v_mul_f32_e32 v4, v10, v5
	v_fma_f32 v8, v7, v10, v3
	v_fma_f32 v3, v7, v10, -v3
	v_fma_f32 v10, 0.5, v2, v4
	v_fma_f32 v2, v2, 0.5, -v4
	v_add_nc_u32_e32 v4, 0x400, v28
	v_fma_f32 v8, -v9, v5, v8
	v_fma_f32 v3, -v9, v5, v3
	v_fmac_f32_e32 v10, v9, v7
	v_fma_f32 v2, -v9, v7, v2
	ds_write2_b32 v4, v10, v8 offset0:140 offset1:141
	ds_write_b64 v6, v[2:3] offset:14256
	ds_read_b64 v[2:3], v28 offset:3168
	ds_read_b64 v[4:5], v6 offset:12672
	s_waitcnt lgkmcnt(0)
	v_sub_f32_e32 v7, v2, v4
	v_add_f32_e32 v8, v3, v5
	v_sub_f32_e32 v3, v3, v5
	v_add_f32_e32 v2, v2, v4
	v_mul_f32_e32 v5, 0.5, v7
	v_mul_f32_e32 v7, 0.5, v8
	v_mul_f32_e32 v3, 0.5, v3
	s_waitcnt vmcnt(2)
	v_mul_f32_e32 v4, v12, v5
	v_fma_f32 v8, v7, v12, v3
	v_fma_f32 v3, v7, v12, -v3
	v_fma_f32 v9, 0.5, v2, v4
	v_fma_f32 v2, v2, 0.5, -v4
	v_add_nc_u32_e32 v4, 0xc00, v28
	v_fma_f32 v8, -v11, v5, v8
	v_fma_f32 v3, -v11, v5, v3
	v_fmac_f32_e32 v9, v11, v7
	v_fma_f32 v2, -v11, v7, v2
	ds_write2_b32 v4, v9, v8 offset0:24 offset1:25
	;; [unrolled: 23-line block ×4, first 2 shown]
	ds_write_b64 v6, v[2:3] offset:9504
	s_waitcnt lgkmcnt(0)
	s_barrier
	buffer_gl0_inv
	s_and_saveexec_b32 s0, vcc_lo
	s_cbranch_execz .LBB0_28
; %bb.26:
	ds_read2_b64 v[6:9], v28 offset1:198
	v_add_co_u32 v2, vcc_lo, s2, v22
	v_add_co_ci_u32_e32 v3, vcc_lo, s3, v23, vcc_lo
	ds_read2_b64 v[10:13], v4 offset0:12 offset1:210
	ds_read2_b64 v[14:17], v5 offset0:24 offset1:222
	v_add_co_u32 v0, vcc_lo, v2, v0
	v_add_co_ci_u32_e32 v1, vcc_lo, v3, v1, vcc_lo
	v_add_nc_u32_e32 v4, 0x2400, v28
	v_add_co_u32 v18, vcc_lo, 0x800, v0
	v_add_nc_u32_e32 v21, 0x3000, v28
	v_add_co_ci_u32_e32 v19, vcc_lo, 0, v1, vcc_lo
	v_add_co_u32 v25, vcc_lo, 0x1000, v0
	v_add_co_ci_u32_e32 v26, vcc_lo, 0, v1, vcc_lo
	s_waitcnt lgkmcnt(2)
	global_store_dwordx2 v[0:1], v[6:7], off
	ds_read2_b64 v[4:7], v4 offset0:36 offset1:234
	ds_read2_b64 v[21:24], v21 offset0:48 offset1:246
	v_add_co_u32 v27, vcc_lo, 0x1800, v0
	v_add_co_ci_u32_e32 v28, vcc_lo, 0, v1, vcc_lo
	global_store_dwordx2 v[0:1], v[8:9], off offset:1584
	v_add_co_u32 v8, vcc_lo, 0x2000, v0
	v_add_co_ci_u32_e32 v9, vcc_lo, 0, v1, vcc_lo
	s_waitcnt lgkmcnt(3)
	global_store_dwordx2 v[18:19], v[10:11], off offset:1120
	global_store_dwordx2 v[25:26], v[12:13], off offset:656
	s_waitcnt lgkmcnt(2)
	global_store_dwordx2 v[27:28], v[14:15], off offset:192
	v_add_co_u32 v10, vcc_lo, 0x2800, v0
	v_add_co_ci_u32_e32 v11, vcc_lo, 0, v1, vcc_lo
	v_add_co_u32 v0, vcc_lo, 0x3000, v0
	v_add_co_ci_u32_e32 v1, vcc_lo, 0, v1, vcc_lo
	v_cmp_eq_u32_e32 vcc_lo, 0xc5, v20
	global_store_dwordx2 v[27:28], v[16:17], off offset:1776
	s_waitcnt lgkmcnt(1)
	global_store_dwordx2 v[8:9], v[4:5], off offset:1312
	global_store_dwordx2 v[10:11], v[6:7], off offset:848
	s_waitcnt lgkmcnt(0)
	global_store_dwordx2 v[0:1], v[21:22], off offset:384
	global_store_dwordx2 v[0:1], v[23:24], off offset:1968
	s_and_b32 exec_lo, exec_lo, vcc_lo
	s_cbranch_execz .LBB0_28
; %bb.27:
	v_mov_b32_e32 v0, 0
	v_add_co_u32 v2, vcc_lo, 0x3800, v2
	v_add_co_ci_u32_e32 v3, vcc_lo, 0, v3, vcc_lo
	ds_read_b64 v[0:1], v0 offset:15840
	s_waitcnt lgkmcnt(0)
	global_store_dwordx2 v[2:3], v[0:1], off offset:1504
.LBB0_28:
	s_endpgm
	.section	.rodata,"a",@progbits
	.p2align	6, 0x0
	.amdhsa_kernel fft_rtc_back_len1980_factors_11_2_3_3_5_2_wgs_198_tpt_198_halfLds_sp_ip_CI_unitstride_sbrr_R2C_dirReg
		.amdhsa_group_segment_fixed_size 0
		.amdhsa_private_segment_fixed_size 0
		.amdhsa_kernarg_size 88
		.amdhsa_user_sgpr_count 6
		.amdhsa_user_sgpr_private_segment_buffer 1
		.amdhsa_user_sgpr_dispatch_ptr 0
		.amdhsa_user_sgpr_queue_ptr 0
		.amdhsa_user_sgpr_kernarg_segment_ptr 1
		.amdhsa_user_sgpr_dispatch_id 0
		.amdhsa_user_sgpr_flat_scratch_init 0
		.amdhsa_user_sgpr_private_segment_size 0
		.amdhsa_wavefront_size32 1
		.amdhsa_uses_dynamic_stack 0
		.amdhsa_system_sgpr_private_segment_wavefront_offset 0
		.amdhsa_system_sgpr_workgroup_id_x 1
		.amdhsa_system_sgpr_workgroup_id_y 0
		.amdhsa_system_sgpr_workgroup_id_z 0
		.amdhsa_system_sgpr_workgroup_info 0
		.amdhsa_system_vgpr_workitem_id 0
		.amdhsa_next_free_vgpr 80
		.amdhsa_next_free_sgpr 21
		.amdhsa_reserve_vcc 1
		.amdhsa_reserve_flat_scratch 0
		.amdhsa_float_round_mode_32 0
		.amdhsa_float_round_mode_16_64 0
		.amdhsa_float_denorm_mode_32 3
		.amdhsa_float_denorm_mode_16_64 3
		.amdhsa_dx10_clamp 1
		.amdhsa_ieee_mode 1
		.amdhsa_fp16_overflow 0
		.amdhsa_workgroup_processor_mode 1
		.amdhsa_memory_ordered 1
		.amdhsa_forward_progress 0
		.amdhsa_shared_vgpr_count 0
		.amdhsa_exception_fp_ieee_invalid_op 0
		.amdhsa_exception_fp_denorm_src 0
		.amdhsa_exception_fp_ieee_div_zero 0
		.amdhsa_exception_fp_ieee_overflow 0
		.amdhsa_exception_fp_ieee_underflow 0
		.amdhsa_exception_fp_ieee_inexact 0
		.amdhsa_exception_int_div_zero 0
	.end_amdhsa_kernel
	.text
.Lfunc_end0:
	.size	fft_rtc_back_len1980_factors_11_2_3_3_5_2_wgs_198_tpt_198_halfLds_sp_ip_CI_unitstride_sbrr_R2C_dirReg, .Lfunc_end0-fft_rtc_back_len1980_factors_11_2_3_3_5_2_wgs_198_tpt_198_halfLds_sp_ip_CI_unitstride_sbrr_R2C_dirReg
                                        ; -- End function
	.section	.AMDGPU.csdata,"",@progbits
; Kernel info:
; codeLenInByte = 9180
; NumSgprs: 23
; NumVgprs: 80
; ScratchSize: 0
; MemoryBound: 0
; FloatMode: 240
; IeeeMode: 1
; LDSByteSize: 0 bytes/workgroup (compile time only)
; SGPRBlocks: 2
; VGPRBlocks: 9
; NumSGPRsForWavesPerEU: 23
; NumVGPRsForWavesPerEU: 80
; Occupancy: 12
; WaveLimiterHint : 1
; COMPUTE_PGM_RSRC2:SCRATCH_EN: 0
; COMPUTE_PGM_RSRC2:USER_SGPR: 6
; COMPUTE_PGM_RSRC2:TRAP_HANDLER: 0
; COMPUTE_PGM_RSRC2:TGID_X_EN: 1
; COMPUTE_PGM_RSRC2:TGID_Y_EN: 0
; COMPUTE_PGM_RSRC2:TGID_Z_EN: 0
; COMPUTE_PGM_RSRC2:TIDIG_COMP_CNT: 0
	.text
	.p2alignl 6, 3214868480
	.fill 48, 4, 3214868480
	.type	__hip_cuid_d955d73e90f52852,@object ; @__hip_cuid_d955d73e90f52852
	.section	.bss,"aw",@nobits
	.globl	__hip_cuid_d955d73e90f52852
__hip_cuid_d955d73e90f52852:
	.byte	0                               ; 0x0
	.size	__hip_cuid_d955d73e90f52852, 1

	.ident	"AMD clang version 19.0.0git (https://github.com/RadeonOpenCompute/llvm-project roc-6.4.0 25133 c7fe45cf4b819c5991fe208aaa96edf142730f1d)"
	.section	".note.GNU-stack","",@progbits
	.addrsig
	.addrsig_sym __hip_cuid_d955d73e90f52852
	.amdgpu_metadata
---
amdhsa.kernels:
  - .args:
      - .actual_access:  read_only
        .address_space:  global
        .offset:         0
        .size:           8
        .value_kind:     global_buffer
      - .offset:         8
        .size:           8
        .value_kind:     by_value
      - .actual_access:  read_only
        .address_space:  global
        .offset:         16
        .size:           8
        .value_kind:     global_buffer
      - .actual_access:  read_only
        .address_space:  global
        .offset:         24
        .size:           8
        .value_kind:     global_buffer
      - .offset:         32
        .size:           8
        .value_kind:     by_value
      - .actual_access:  read_only
        .address_space:  global
        .offset:         40
        .size:           8
        .value_kind:     global_buffer
      - .actual_access:  read_only
        .address_space:  global
        .offset:         48
        .size:           8
        .value_kind:     global_buffer
      - .offset:         56
        .size:           4
        .value_kind:     by_value
      - .actual_access:  read_only
        .address_space:  global
        .offset:         64
        .size:           8
        .value_kind:     global_buffer
      - .actual_access:  read_only
        .address_space:  global
        .offset:         72
        .size:           8
        .value_kind:     global_buffer
      - .address_space:  global
        .offset:         80
        .size:           8
        .value_kind:     global_buffer
    .group_segment_fixed_size: 0
    .kernarg_segment_align: 8
    .kernarg_segment_size: 88
    .language:       OpenCL C
    .language_version:
      - 2
      - 0
    .max_flat_workgroup_size: 198
    .name:           fft_rtc_back_len1980_factors_11_2_3_3_5_2_wgs_198_tpt_198_halfLds_sp_ip_CI_unitstride_sbrr_R2C_dirReg
    .private_segment_fixed_size: 0
    .sgpr_count:     23
    .sgpr_spill_count: 0
    .symbol:         fft_rtc_back_len1980_factors_11_2_3_3_5_2_wgs_198_tpt_198_halfLds_sp_ip_CI_unitstride_sbrr_R2C_dirReg.kd
    .uniform_work_group_size: 1
    .uses_dynamic_stack: false
    .vgpr_count:     80
    .vgpr_spill_count: 0
    .wavefront_size: 32
    .workgroup_processor_mode: 1
amdhsa.target:   amdgcn-amd-amdhsa--gfx1030
amdhsa.version:
  - 1
  - 2
...

	.end_amdgpu_metadata
